;; amdgpu-corpus repo=ROCm/rocFFT kind=compiled arch=gfx950 opt=O3
	.text
	.amdgcn_target "amdgcn-amd-amdhsa--gfx950"
	.amdhsa_code_object_version 6
	.protected	fft_rtc_fwd_len52_factors_13_4_wgs_208_tpt_13_sp_ip_CI_sbcc_twdbase8_2step ; -- Begin function fft_rtc_fwd_len52_factors_13_4_wgs_208_tpt_13_sp_ip_CI_sbcc_twdbase8_2step
	.globl	fft_rtc_fwd_len52_factors_13_4_wgs_208_tpt_13_sp_ip_CI_sbcc_twdbase8_2step
	.p2align	8
	.type	fft_rtc_fwd_len52_factors_13_4_wgs_208_tpt_13_sp_ip_CI_sbcc_twdbase8_2step,@function
fft_rtc_fwd_len52_factors_13_4_wgs_208_tpt_13_sp_ip_CI_sbcc_twdbase8_2step: ; @fft_rtc_fwd_len52_factors_13_4_wgs_208_tpt_13_sp_ip_CI_sbcc_twdbase8_2step
; %bb.0:
	s_load_dwordx4 s[4:7], s[0:1], 0x18
	s_mov_b32 s3, 0
	s_mov_b64 s[24:25], 0
	s_waitcnt lgkmcnt(0)
	s_load_dwordx2 s[20:21], s[4:5], 0x8
	s_waitcnt lgkmcnt(0)
	s_add_u32 s8, s20, -1
	s_addc_u32 s9, s21, -1
	s_lshr_b64 s[8:9], s[8:9], 4
	s_add_u32 s22, s8, 1
	s_addc_u32 s23, s9, 0
	v_mov_b64_e32 v[2:3], s[22:23]
	v_cmp_lt_u64_e32 vcc, s[2:3], v[2:3]
	s_cbranch_vccnz .LBB0_2
; %bb.1:
	v_cvt_f32_u32_e32 v1, s22
	s_sub_i32 s8, 0, s22
	s_mov_b32 s25, s3
	v_rcp_iflag_f32_e32 v1, v1
	s_nop 0
	v_mul_f32_e32 v1, 0x4f7ffffe, v1
	v_cvt_u32_f32_e32 v1, v1
	s_nop 0
	v_readfirstlane_b32 s9, v1
	s_mul_i32 s8, s8, s9
	s_mul_hi_u32 s8, s9, s8
	s_add_i32 s9, s9, s8
	s_mul_hi_u32 s8, s2, s9
	s_mul_i32 s10, s8, s22
	s_sub_i32 s10, s2, s10
	s_add_i32 s9, s8, 1
	s_sub_i32 s11, s10, s22
	s_cmp_ge_u32 s10, s22
	s_cselect_b32 s8, s9, s8
	s_cselect_b32 s10, s11, s10
	s_add_i32 s9, s8, 1
	s_cmp_ge_u32 s10, s22
	s_cselect_b32 s24, s9, s8
.LBB0_2:
	s_mul_i32 s18, s24, s23
	s_mul_hi_u32 s19, s24, s22
	s_add_i32 s19, s19, s18
	s_mul_i32 s18, s24, s22
	s_load_dwordx4 s[8:11], s[6:7], 0x0
	s_load_dwordx2 s[16:17], s[0:1], 0x0
	s_load_dwordx4 s[12:15], s[0:1], 0x8
	s_sub_u32 s26, s2, s18
	s_subb_u32 s27, 0, s19
	v_mov_b32_e32 v1, s26
	s_lshl_b64 s[18:19], s[26:27], 4
	v_alignbit_b32 v1, s27, v1, 28
	s_waitcnt lgkmcnt(0)
	v_mul_lo_u32 v1, s10, v1
	s_mul_hi_u32 s26, s10, s18
	v_add_u32_e32 v1, s26, v1
	s_mul_i32 s26, s11, s18
	v_add_u32_e32 v3, s26, v1
	s_mul_i32 s26, s10, s18
	v_mov_b32_e32 v2, s26
	v_cmp_lt_u64_e64 s[26:27], s[14:15], 3
	s_and_b64 vcc, exec, s[26:27]
	s_cbranch_vccnz .LBB0_11
; %bb.3:
	s_add_u32 s26, s6, 16
	s_addc_u32 s27, s7, 0
	s_add_u32 s28, s4, 16
	s_addc_u32 s29, s5, 0
	s_mov_b64 s[30:31], 2
	s_mov_b32 s34, 0
	v_mov_b64_e32 v[4:5], s[14:15]
	s_branch .LBB0_5
.LBB0_4:                                ;   in Loop: Header=BB0_5 Depth=1
	s_mul_i32 s23, s36, s23
	s_mul_hi_u32 s33, s36, s22
	s_add_i32 s23, s33, s23
	s_mul_i32 s33, s37, s22
	s_add_i32 s23, s23, s33
	s_mul_i32 s33, s4, s37
	s_mul_hi_u32 s35, s4, s36
	s_load_dwordx2 s[38:39], s[26:27], 0x0
	s_add_i32 s33, s35, s33
	s_mul_i32 s35, s5, s36
	s_add_i32 s33, s33, s35
	s_mul_i32 s35, s4, s36
	s_sub_u32 s24, s24, s35
	s_subb_u32 s25, s25, s33
	s_waitcnt lgkmcnt(0)
	s_mul_i32 s25, s38, s25
	s_mul_hi_u32 s33, s38, s24
	s_add_i32 s25, s33, s25
	s_mul_i32 s33, s39, s24
	s_add_i32 s25, s25, s33
	s_add_u32 s30, s30, 1
	s_addc_u32 s31, s31, 0
	s_add_u32 s26, s26, 8
	s_addc_u32 s27, s27, 0
	s_mul_i32 s24, s38, s24
	s_add_u32 s28, s28, 8
	v_cmp_ge_u64_e32 vcc, s[30:31], v[4:5]
	s_mul_i32 s22, s36, s22
	v_lshl_add_u64 v[2:3], s[24:25], 0, v[2:3]
	s_addc_u32 s29, s29, 0
	s_mov_b64 s[24:25], s[4:5]
	s_cbranch_vccnz .LBB0_9
.LBB0_5:                                ; =>This Inner Loop Header: Depth=1
	s_load_dwordx2 s[36:37], s[28:29], 0x0
	s_waitcnt lgkmcnt(0)
	s_or_b64 s[4:5], s[24:25], s[36:37]
	s_mov_b32 s35, s5
	s_cmp_lg_u64 s[34:35], 0
	s_cbranch_scc0 .LBB0_7
; %bb.6:                                ;   in Loop: Header=BB0_5 Depth=1
	v_cvt_f32_u32_e32 v1, s36
	v_cvt_f32_u32_e32 v6, s37
	s_sub_u32 s4, 0, s36
	s_subb_u32 s5, 0, s37
	v_fmac_f32_e32 v1, 0x4f800000, v6
	v_rcp_f32_e32 v1, v1
	s_nop 0
	v_mul_f32_e32 v1, 0x5f7ffffc, v1
	v_mul_f32_e32 v6, 0x2f800000, v1
	v_trunc_f32_e32 v6, v6
	v_fmac_f32_e32 v1, 0xcf800000, v6
	v_cvt_u32_f32_e32 v6, v6
	v_cvt_u32_f32_e32 v1, v1
	v_readfirstlane_b32 s33, v6
	v_readfirstlane_b32 s35, v1
	s_mul_i32 s38, s4, s33
	s_mul_hi_u32 s40, s4, s35
	s_mul_i32 s39, s5, s35
	s_add_i32 s38, s40, s38
	s_mul_i32 s41, s4, s35
	s_add_i32 s38, s38, s39
	s_mul_hi_u32 s39, s35, s38
	s_mul_i32 s40, s35, s38
	s_mul_hi_u32 s35, s35, s41
	s_add_u32 s35, s35, s40
	s_addc_u32 s39, 0, s39
	s_mul_hi_u32 s42, s33, s41
	s_mul_i32 s41, s33, s41
	s_add_u32 s35, s35, s41
	s_mul_hi_u32 s40, s33, s38
	s_addc_u32 s35, s39, s42
	s_addc_u32 s39, s40, 0
	s_mul_i32 s38, s33, s38
	s_add_u32 s35, s35, s38
	s_addc_u32 s38, 0, s39
	v_add_co_u32_e32 v1, vcc, s35, v1
	s_cmp_lg_u64 vcc, 0
	s_addc_u32 s33, s33, s38
	v_readfirstlane_b32 s38, v1
	s_mul_i32 s35, s4, s33
	s_mul_hi_u32 s39, s4, s38
	s_add_i32 s35, s39, s35
	s_mul_i32 s5, s5, s38
	s_add_i32 s35, s35, s5
	s_mul_i32 s4, s4, s38
	s_mul_hi_u32 s39, s33, s4
	s_mul_i32 s40, s33, s4
	s_mul_i32 s42, s38, s35
	s_mul_hi_u32 s4, s38, s4
	s_mul_hi_u32 s41, s38, s35
	s_add_u32 s4, s4, s42
	s_addc_u32 s38, 0, s41
	s_add_u32 s4, s4, s40
	s_mul_hi_u32 s5, s33, s35
	s_addc_u32 s4, s38, s39
	s_addc_u32 s5, s5, 0
	s_mul_i32 s35, s33, s35
	s_add_u32 s4, s4, s35
	s_addc_u32 s5, 0, s5
	v_add_co_u32_e32 v1, vcc, s4, v1
	s_cmp_lg_u64 vcc, 0
	s_addc_u32 s4, s33, s5
	v_readfirstlane_b32 s35, v1
	s_mul_i32 s33, s24, s4
	s_mul_hi_u32 s38, s24, s35
	s_mul_hi_u32 s5, s24, s4
	s_add_u32 s33, s38, s33
	s_addc_u32 s5, 0, s5
	s_mul_hi_u32 s39, s25, s35
	s_mul_i32 s35, s25, s35
	s_add_u32 s33, s33, s35
	s_mul_hi_u32 s38, s25, s4
	s_addc_u32 s5, s5, s39
	s_addc_u32 s33, s38, 0
	s_mul_i32 s4, s25, s4
	s_add_u32 s35, s5, s4
	s_addc_u32 s33, 0, s33
	s_mul_i32 s4, s36, s33
	s_mul_hi_u32 s5, s36, s35
	s_add_i32 s4, s5, s4
	s_mul_i32 s5, s37, s35
	s_add_i32 s38, s4, s5
	s_mul_i32 s5, s36, s35
	v_mov_b32_e32 v1, s5
	s_sub_i32 s4, s25, s38
	v_sub_co_u32_e32 v1, vcc, s24, v1
	s_cmp_lg_u64 vcc, 0
	s_subb_u32 s39, s4, s37
	v_subrev_co_u32_e64 v6, s[4:5], s36, v1
	s_cmp_lg_u64 s[4:5], 0
	s_subb_u32 s4, s39, 0
	s_cmp_ge_u32 s4, s37
	v_readfirstlane_b32 s39, v6
	s_cselect_b32 s5, -1, 0
	s_cmp_ge_u32 s39, s36
	s_cselect_b32 s39, -1, 0
	s_cmp_eq_u32 s4, s37
	s_cselect_b32 s4, s39, s5
	s_add_u32 s5, s35, 1
	s_addc_u32 s39, s33, 0
	s_add_u32 s40, s35, 2
	s_addc_u32 s41, s33, 0
	s_cmp_lg_u32 s4, 0
	s_cselect_b32 s4, s40, s5
	s_cselect_b32 s5, s41, s39
	s_cmp_lg_u64 vcc, 0
	s_subb_u32 s38, s25, s38
	s_cmp_ge_u32 s38, s37
	v_readfirstlane_b32 s40, v1
	s_cselect_b32 s39, -1, 0
	s_cmp_ge_u32 s40, s36
	s_cselect_b32 s40, -1, 0
	s_cmp_eq_u32 s38, s37
	s_cselect_b32 s38, s40, s39
	s_cmp_lg_u32 s38, 0
	s_cselect_b32 s5, s5, s33
	s_cselect_b32 s4, s4, s35
	s_cbranch_execnz .LBB0_4
	s_branch .LBB0_8
.LBB0_7:                                ;   in Loop: Header=BB0_5 Depth=1
                                        ; implicit-def: $sgpr4_sgpr5
.LBB0_8:                                ;   in Loop: Header=BB0_5 Depth=1
	v_cvt_f32_u32_e32 v1, s36
	s_sub_i32 s4, 0, s36
	v_rcp_iflag_f32_e32 v1, v1
	s_nop 0
	v_mul_f32_e32 v1, 0x4f7ffffe, v1
	v_cvt_u32_f32_e32 v1, v1
	s_nop 0
	v_readfirstlane_b32 s5, v1
	s_mul_i32 s4, s4, s5
	s_mul_hi_u32 s4, s5, s4
	s_add_i32 s5, s5, s4
	s_mul_hi_u32 s4, s24, s5
	s_mul_i32 s33, s4, s36
	s_sub_i32 s33, s24, s33
	s_add_i32 s5, s4, 1
	s_sub_i32 s35, s33, s36
	s_cmp_ge_u32 s33, s36
	s_cselect_b32 s4, s5, s4
	s_cselect_b32 s33, s35, s33
	s_add_i32 s5, s4, 1
	s_cmp_ge_u32 s33, s36
	s_cselect_b32 s4, s5, s4
	s_mov_b32 s5, s34
	s_branch .LBB0_4
.LBB0_9:
	v_mov_b64_e32 v[4:5], s[22:23]
	v_cmp_lt_u64_e32 vcc, s[2:3], v[4:5]
	s_mov_b64 s[24:25], 0
	s_cbranch_vccnz .LBB0_11
; %bb.10:
	v_cvt_f32_u32_e32 v1, s22
	s_sub_i32 s3, 0, s22
	v_rcp_iflag_f32_e32 v1, v1
	s_nop 0
	v_mul_f32_e32 v1, 0x4f7ffffe, v1
	v_cvt_u32_f32_e32 v1, v1
	s_nop 0
	v_readfirstlane_b32 s4, v1
	s_mul_i32 s3, s3, s4
	s_mul_hi_u32 s3, s4, s3
	s_add_i32 s4, s4, s3
	s_mul_hi_u32 s3, s2, s4
	s_mul_i32 s5, s3, s22
	s_sub_i32 s2, s2, s5
	s_add_i32 s4, s3, 1
	s_sub_i32 s5, s2, s22
	s_cmp_ge_u32 s2, s22
	s_cselect_b32 s3, s4, s3
	s_cselect_b32 s2, s5, s2
	s_add_i32 s4, s3, 1
	s_cmp_ge_u32 s2, s22
	s_cselect_b32 s24, s4, s3
.LBB0_11:
	s_load_dwordx2 s[2:3], s[0:1], 0x58
	s_lshl_b64 s[0:1], s[14:15], 3
	s_add_u32 s0, s6, s0
	s_addc_u32 s1, s7, s1
	s_load_dwordx2 s[0:1], s[0:1], 0x0
	v_mov_b64_e32 v[4:5], s[20:21]
	v_and_b32_e32 v99, 15, v0
	v_lshrrev_b32_e32 v100, 4, v0
	v_lshlrev_b32_e32 v101, 3, v100
	s_waitcnt lgkmcnt(0)
	s_mul_i32 s1, s1, s24
	s_mul_hi_u32 s4, s0, s24
	s_mul_i32 s0, s0, s24
	s_add_i32 s1, s4, s1
	v_lshl_add_u64 v[2:3], s[0:1], 0, v[2:3]
	s_add_u32 s0, s18, 16
	s_addc_u32 s1, s19, 0
	v_cmp_le_u64_e32 vcc, s[0:1], v[4:5]
	v_or_b32_e32 v4, s18, v99
	v_mov_b32_e32 v5, s19
	v_cmp_gt_u64_e64 s[0:1], s[20:21], v[4:5]
	s_or_b64 s[0:1], vcc, s[0:1]
	v_lshlrev_b64 v[24:25], 3, v[2:3]
	v_add_u32_e32 v98, 13, v100
	v_add_u32_e32 v97, 26, v100
	;; [unrolled: 1-line block ×3, first 2 shown]
	s_and_saveexec_b64 s[4:5], s[0:1]
	s_cbranch_execz .LBB0_13
; %bb.12:
	v_mad_u64_u32 v[2:3], s[6:7], s10, v99, 0
	v_mov_b32_e32 v4, v3
	v_mad_u64_u32 v[4:5], s[6:7], s11, v99, v[4:5]
	v_mov_b32_e32 v3, v4
	;; [unrolled: 2-line block ×4, first 2 shown]
	v_lshl_add_u64 v[6:7], s[2:3], 0, v[24:25]
	v_lshl_add_u64 v[2:3], v[2:3], 3, v[6:7]
	v_mad_u64_u32 v[6:7], s[6:7], s8, v98, 0
	v_mov_b32_e32 v8, v7
	v_mad_u64_u32 v[8:9], s[6:7], s9, v98, v[8:9]
	v_mov_b32_e32 v7, v8
	;; [unrolled: 2-line block ×5, first 2 shown]
	v_mad_u64_u32 v[12:13], s[6:7], s9, v96, v[12:13]
	v_lshl_add_u64 v[4:5], v[4:5], 3, v[2:3]
	v_mov_b32_e32 v11, v12
	v_lshl_add_u64 v[6:7], v[6:7], 3, v[2:3]
	v_lshl_add_u64 v[8:9], v[8:9], 3, v[2:3]
	;; [unrolled: 1-line block ×3, first 2 shown]
	global_load_dwordx2 v[10:11], v[4:5], off
	global_load_dwordx2 v[12:13], v[6:7], off
	;; [unrolled: 1-line block ×4, first 2 shown]
	v_mul_u32_u24_e32 v1, 0x1a0, v99
	v_add3_u32 v1, 0, v1, v101
	s_waitcnt vmcnt(2)
	ds_write2_b64 v1, v[10:11], v[12:13] offset1:13
	s_waitcnt vmcnt(0)
	ds_write2_b64 v1, v[14:15], v[16:17] offset0:26 offset1:39
.LBB0_13:
	s_or_b64 exec, exec, s[4:5]
	s_movk_i32 s4, 0x4ec5
	v_mul_u32_u24_sdwa v1, v0, s4 dst_sel:DWORD dst_unused:UNUSED_PAD src0_sel:WORD_0 src1_sel:DWORD
	v_lshrrev_b32_e32 v105, 18, v1
	v_mul_lo_u16_e32 v2, 13, v105
	v_and_b32_e32 v1, 15, v105
	v_sub_u16_e32 v104, v0, v2
	v_mul_lo_u16_e32 v1, 52, v1
	v_lshlrev_b32_e32 v0, 3, v104
	v_lshlrev_b32_e32 v40, 3, v1
	v_add_u32_e32 v41, 0, v0
	v_add3_u32 v103, 0, v40, v0
	v_add_u32_e32 v102, v41, v40
	s_waitcnt lgkmcnt(0)
	s_barrier
	ds_read_b64 v[26:27], v103
	ds_read2_b64 v[20:23], v102 offset0:4 offset1:8
	ds_read2_b64 v[16:19], v102 offset0:12 offset1:16
	;; [unrolled: 1-line block ×6, first 2 shown]
	v_cmp_gt_u16_e32 vcc, 4, v104
	s_waitcnt lgkmcnt(0)
	s_barrier
	s_and_saveexec_b64 s[4:5], vcc
	s_cbranch_execz .LBB0_15
; %bb.14:
	v_pk_add_f32 v[42:43], v[20:21], v[2:3] neg_lo:[0,1] neg_hi:[0,1]
	v_pk_add_f32 v[38:39], v[2:3], v[20:21]
	v_pk_add_f32 v[20:21], v[26:27], v[20:21]
	v_pk_add_f32 v[46:47], v[16:17], v[6:7] neg_lo:[0,1] neg_hi:[0,1]
	v_pk_add_f32 v[20:21], v[20:21], v[22:23]
	v_pk_add_f32 v[34:35], v[6:7], v[16:17]
	v_pk_add_f32 v[16:17], v[20:21], v[16:17]
	v_pk_add_f32 v[50:51], v[12:13], v[10:11] neg_lo:[0,1] neg_hi:[0,1]
	v_pk_add_f32 v[16:17], v[16:17], v[18:19]
	;; [unrolled: 4-line block ×5, first 2 shown]
	v_pk_add_f32 v[36:37], v[0:1], v[22:23]
	v_mul_u32_u24_e32 v54, 0x60, v104
	v_pk_add_f32 v[0:1], v[4:5], v[0:1]
	v_mov_b32_e32 v64, v38
	v_mov_b32_e32 v65, v42
	s_mov_b32 s37, 0xbeedf032
	s_mov_b32 s36, 0x3f62ad3f
	v_add3_u32 v106, v41, v54, v40
	v_pk_add_f32 v[40:41], v[0:1], v[2:3]
	v_pk_mul_f32 v[0:1], v[64:65], s[36:37]
	v_mov_b32_e32 v38, v43
	s_mov_b32 s6, s37
	s_mov_b32 s7, s36
	v_pk_fma_f32 v[4:5], v[38:39], s[6:7], v[0:1] neg_lo:[1,0,0] neg_hi:[1,0,0]
	v_pk_fma_f32 v[2:3], v[38:39], s[6:7], v[0:1]
	s_mov_b32 s42, 0x3f116cb1
	v_mov_b32_e32 v5, v3
	v_mov_b32_e32 v66, v36
	v_mov_b32_e32 v67, v44
	s_mov_b32 s43, 0xbf52af12
	v_pk_add_f32 v[8:9], v[26:27], v[4:5]
	v_pk_mul_f32 v[4:5], v[66:67], s[42:43]
	v_mov_b32_e32 v36, v45
	s_mov_b32 s14, s43
	s_mov_b32 s15, s42
	v_pk_fma_f32 v[10:11], v[36:37], s[14:15], v[4:5] neg_lo:[1,0,0] neg_hi:[1,0,0]
	v_pk_fma_f32 v[6:7], v[36:37], s[14:15], v[4:5]
	s_mov_b32 s50, 0x3df6dbef
	v_mov_b32_e32 v11, v7
	v_mov_b32_e32 v68, v34
	v_mov_b32_e32 v69, v46
	s_mov_b32 s51, 0xbf7e222b
	;; [unrolled: 12-line block ×5, first 2 shown]
	v_pk_add_f32 v[42:43], v[22:23], v[20:21]
	v_pk_mul_f32 v[20:21], v[108:109], s[46:47]
	v_mov_b32_e32 v28, v53
	s_mov_b32 s26, s47
	s_mov_b32 s27, s46
	v_pk_fma_f32 v[44:45], v[28:29], s[26:27], v[20:21] neg_lo:[1,0,0] neg_hi:[1,0,0]
	v_pk_fma_f32 v[22:23], v[28:29], s[26:27], v[20:21]
	v_pk_mul_f32 v[46:47], v[66:67], s[38:39]
	v_mov_b32_e32 v45, v23
	v_pk_add_f32 v[42:43], v[44:45], v[42:43]
	ds_write2_b64 v106, v[40:41], v[42:43] offset1:1
	v_pk_mul_f32 v[42:43], v[64:65], s[42:43]
	v_pk_fma_f32 v[50:51], v[36:37], s[22:23], v[46:47] neg_lo:[1,0,0] neg_hi:[1,0,0]
	v_pk_fma_f32 v[44:45], v[38:39], s[14:15], v[42:43] neg_lo:[1,0,0] neg_hi:[1,0,0]
	v_pk_fma_f32 v[40:41], v[38:39], s[14:15], v[42:43]
	s_mov_b32 s53, 0x3f29c268
	v_mov_b32_e32 v45, v41
	v_pk_add_f32 v[48:49], v[26:27], v[44:45]
	v_pk_fma_f32 v[44:45], v[36:37], s[22:23], v[46:47]
	s_mov_b32 s52, s44
	v_mov_b32_e32 v51, v45
	v_pk_add_f32 v[52:53], v[50:51], v[48:49]
	v_pk_mul_f32 v[50:51], v[68:69], s[46:47]
	s_mov_b32 s28, s53
	v_pk_fma_f32 v[54:55], v[34:35], s[26:27], v[50:51] neg_lo:[1,0,0] neg_hi:[1,0,0]
	v_pk_fma_f32 v[48:49], v[34:35], s[26:27], v[50:51]
	s_mov_b32 s29, s44
	v_mov_b32_e32 v55, v49
	v_pk_add_f32 v[56:57], v[54:55], v[52:53]
	v_pk_mul_f32 v[54:55], v[72:73], s[52:53]
	s_mov_b32 s49, 0x3f7e222b
	v_pk_fma_f32 v[58:59], v[32:33], s[28:29], v[54:55] neg_lo:[1,0,0] neg_hi:[1,0,0]
	v_pk_fma_f32 v[52:53], v[32:33], s[28:29], v[54:55]
	s_mov_b32 s48, s50
	v_mov_b32_e32 v59, v53
	v_pk_add_f32 v[60:61], v[58:59], v[56:57]
	s_mov_b32 s30, s49
	s_mov_b32 s31, s50
	v_pk_mul_f32 v[58:59], v[82:83], s[48:49]
	s_mov_b32 s37, 0x3eedf032
	v_pk_fma_f32 v[62:63], v[30:31], s[30:31], v[58:59] neg_lo:[1,0,0] neg_hi:[1,0,0]
	v_pk_fma_f32 v[56:57], v[30:31], s[30:31], v[58:59]
	s_mov_b32 s34, s37
	v_mov_b32_e32 v63, v57
	v_pk_add_f32 v[70:71], v[62:63], v[60:61]
	s_mov_b32 s35, s36
	v_pk_mul_f32 v[62:63], v[108:109], s[36:37]
	v_pk_mul_f32 v[78:79], v[66:67], s[46:47]
	v_pk_fma_f32 v[74:75], v[28:29], s[34:35], v[62:63] neg_lo:[1,0,0] neg_hi:[1,0,0]
	v_pk_fma_f32 v[60:61], v[28:29], s[34:35], v[62:63]
	v_pk_fma_f32 v[84:85], v[36:37], s[26:27], v[78:79] neg_lo:[1,0,0] neg_hi:[1,0,0]
	v_mov_b32_e32 v75, v61
	v_pk_add_f32 v[110:111], v[74:75], v[70:71]
	v_pk_mul_f32 v[74:75], v[64:65], s[50:51]
	s_mov_b32 s55, 0x3f6f5d39
	v_pk_fma_f32 v[76:77], v[38:39], s[20:21], v[74:75] neg_lo:[1,0,0] neg_hi:[1,0,0]
	v_pk_fma_f32 v[70:71], v[38:39], s[20:21], v[74:75]
	s_mov_b32 s54, s38
	v_mov_b32_e32 v77, v71
	v_pk_add_f32 v[80:81], v[26:27], v[76:77]
	v_pk_fma_f32 v[76:77], v[36:37], s[26:27], v[78:79]
	s_mov_b32 s40, s55
	v_mov_b32_e32 v85, v77
	v_pk_add_f32 v[86:87], v[84:85], v[80:81]
	s_mov_b32 s41, s38
	v_pk_mul_f32 v[84:85], v[68:69], s[54:55]
	v_pk_mul_f32 v[114:115], v[108:109], s[44:45]
	v_pk_fma_f32 v[88:89], v[34:35], s[40:41], v[84:85] neg_lo:[1,0,0] neg_hi:[1,0,0]
	v_pk_fma_f32 v[80:81], v[34:35], s[40:41], v[84:85]
	v_pk_fma_f32 v[116:117], v[28:29], s[24:25], v[114:115] neg_lo:[1,0,0] neg_hi:[1,0,0]
	v_mov_b32_e32 v89, v81
	v_pk_add_f32 v[90:91], v[88:89], v[86:87]
	v_pk_mul_f32 v[88:89], v[72:73], s[36:37]
	v_pk_mul_f32 v[118:119], v[66:67], s[52:53]
	v_pk_fma_f32 v[92:93], v[32:33], s[34:35], v[88:89] neg_lo:[1,0,0] neg_hi:[1,0,0]
	v_pk_fma_f32 v[86:87], v[32:33], s[34:35], v[88:89]
	v_pk_fma_f32 v[120:121], v[36:37], s[28:29], v[118:119] neg_lo:[1,0,0] neg_hi:[1,0,0]
	v_mov_b32_e32 v93, v87
	v_pk_add_f32 v[94:95], v[92:93], v[90:91]
	v_pk_mul_f32 v[92:93], v[82:83], s[42:43]
	v_pk_fma_f32 v[122:123], v[36:37], s[28:29], v[118:119]
	v_pk_fma_f32 v[112:113], v[30:31], s[14:15], v[92:93] neg_lo:[1,0,0] neg_hi:[1,0,0]
	v_pk_fma_f32 v[90:91], v[30:31], s[14:15], v[92:93]
	v_mov_b32_e32 v121, v123
	v_mov_b32_e32 v113, v91
	v_pk_add_f32 v[112:113], v[112:113], v[94:95]
	v_pk_fma_f32 v[94:95], v[28:29], s[24:25], v[114:115]
	s_mov_b32 s55, 0x3e750f2a
	v_mov_b32_e32 v117, v95
	v_pk_add_f32 v[112:113], v[116:117], v[112:113]
	ds_write2_b64 v106, v[110:111], v[112:113] offset0:2 offset1:3
	v_pk_mul_f32 v[110:111], v[64:65], s[38:39]
	s_mov_b32 s54, s46
	v_pk_fma_f32 v[112:113], v[38:39], s[22:23], v[110:111] neg_lo:[1,0,0] neg_hi:[1,0,0]
	v_pk_fma_f32 v[116:117], v[38:39], s[22:23], v[110:111]
	s_mov_b32 s57, 0x3f52af12
	v_mov_b32_e32 v113, v117
	v_pk_add_f32 v[112:113], v[26:27], v[112:113]
	s_mov_b32 s56, s42
	v_pk_add_f32 v[112:113], v[120:121], v[112:113]
	v_pk_mul_f32 v[120:121], v[68:69], s[36:37]
	s_mov_b32 s52, s57
	v_pk_fma_f32 v[124:125], v[34:35], s[34:35], v[120:121] neg_lo:[1,0,0] neg_hi:[1,0,0]
	v_pk_fma_f32 v[126:127], v[34:35], s[34:35], v[120:121]
	s_mov_b32 s53, s42
	v_mov_b32_e32 v125, v127
	v_pk_add_f32 v[112:113], v[124:125], v[112:113]
	v_pk_mul_f32 v[124:125], v[72:73], s[50:51]
	s_mov_b32 s50, s55
	v_pk_fma_f32 v[128:129], v[32:33], s[20:21], v[124:125] neg_lo:[1,0,0] neg_hi:[1,0,0]
	v_pk_fma_f32 v[130:131], v[32:33], s[20:21], v[124:125]
	s_mov_b32 s51, s46
	v_mov_b32_e32 v129, v131
	v_pk_add_f32 v[112:113], v[128:129], v[112:113]
	v_pk_mul_f32 v[128:129], v[82:83], s[54:55]
	v_pk_mul_f32 v[144:145], v[66:67], s[48:49]
	v_pk_fma_f32 v[132:133], v[30:31], s[50:51], v[128:129] neg_lo:[1,0,0] neg_hi:[1,0,0]
	v_pk_fma_f32 v[134:135], v[30:31], s[50:51], v[128:129]
	v_pk_fma_f32 v[146:147], v[36:37], s[30:31], v[144:145] neg_lo:[1,0,0] neg_hi:[1,0,0]
	v_mov_b32_e32 v133, v135
	v_pk_add_f32 v[112:113], v[132:133], v[112:113]
	v_pk_mul_f32 v[132:133], v[108:109], s[56:57]
	v_pk_fma_f32 v[148:149], v[36:37], s[30:31], v[144:145]
	v_pk_fma_f32 v[136:137], v[28:29], s[52:53], v[132:133] neg_lo:[1,0,0] neg_hi:[1,0,0]
	v_pk_fma_f32 v[138:139], v[28:29], s[52:53], v[132:133]
	v_mov_b32_e32 v147, v149
	v_mov_b32_e32 v137, v139
	v_pk_add_f32 v[112:113], v[136:137], v[112:113]
	v_pk_mul_f32 v[136:137], v[64:65], s[44:45]
	v_pk_mul_f32 v[64:65], v[64:65], s[46:47]
	v_pk_fma_f32 v[140:141], v[38:39], s[24:25], v[136:137] neg_lo:[1,0,0] neg_hi:[1,0,0]
	v_pk_fma_f32 v[142:143], v[38:39], s[24:25], v[136:137]
	v_pk_mul_f32 v[66:67], v[66:67], s[36:37]
	v_mov_b32_e32 v141, v143
	v_pk_add_f32 v[140:141], v[26:27], v[140:141]
	v_pk_fma_f32 v[166:167], v[36:37], s[34:35], v[66:67]
	v_pk_add_f32 v[140:141], v[146:147], v[140:141]
	v_pk_mul_f32 v[146:147], v[68:69], s[42:43]
	v_pk_mul_f32 v[68:69], v[68:69], s[44:45]
	v_pk_fma_f32 v[150:151], v[34:35], s[14:15], v[146:147] neg_lo:[1,0,0] neg_hi:[1,0,0]
	v_pk_fma_f32 v[152:153], v[34:35], s[14:15], v[146:147]
	v_pk_fma_f32 v[168:169], v[34:35], s[24:25], v[68:69]
	v_mov_b32_e32 v151, v153
	v_pk_add_f32 v[140:141], v[150:151], v[140:141]
	v_pk_mul_f32 v[150:151], v[72:73], s[54:55]
	v_pk_mul_f32 v[72:73], v[72:73], s[56:57]
	v_pk_fma_f32 v[154:155], v[32:33], s[50:51], v[150:151] neg_lo:[1,0,0] neg_hi:[1,0,0]
	v_pk_fma_f32 v[156:157], v[32:33], s[50:51], v[150:151]
	v_pk_fma_f32 v[170:171], v[32:33], s[52:53], v[72:73]
	v_mov_b32_e32 v155, v157
	;; [unrolled: 7-line block ×4, first 2 shown]
	v_pk_add_f32 v[140:141], v[162:163], v[140:141]
	ds_write2_b64 v106, v[112:113], v[140:141] offset0:4 offset1:5
	v_pk_fma_f32 v[112:113], v[38:39], s[26:27], v[64:65] neg_lo:[1,0,0] neg_hi:[1,0,0]
	v_pk_fma_f32 v[140:141], v[38:39], s[26:27], v[64:65]
	v_pk_fma_f32 v[162:163], v[36:37], s[34:35], v[66:67] neg_lo:[1,0,0] neg_hi:[1,0,0]
	v_mov_b32_e32 v113, v141
	v_pk_add_f32 v[112:113], v[26:27], v[112:113]
	v_mov_b32_e32 v163, v167
	v_pk_add_f32 v[112:113], v[162:163], v[112:113]
	v_pk_fma_f32 v[162:163], v[34:35], s[24:25], v[68:69] neg_lo:[1,0,0] neg_hi:[1,0,0]
	v_pk_fma_f32 v[64:65], v[38:39], s[26:27], v[64:65] neg_lo:[0,0,1] neg_hi:[0,0,1]
	v_mov_b32_e32 v163, v169
	v_pk_add_f32 v[112:113], v[162:163], v[112:113]
	v_pk_fma_f32 v[162:163], v[32:33], s[52:53], v[72:73] neg_lo:[1,0,0] neg_hi:[1,0,0]
	v_mov_b32_e32 v141, v65
	v_mov_b32_e32 v163, v171
	v_pk_fma_f32 v[64:65], v[36:37], s[34:35], v[66:67] neg_lo:[0,0,1] neg_hi:[0,0,1]
	v_pk_fma_f32 v[66:67], v[34:35], s[24:25], v[68:69] neg_lo:[0,0,1] neg_hi:[0,0,1]
	v_pk_add_f32 v[112:113], v[162:163], v[112:113]
	v_pk_fma_f32 v[162:163], v[30:31], s[22:23], v[82:83] neg_lo:[1,0,0] neg_hi:[1,0,0]
	v_mov_b32_e32 v169, v67
	v_pk_fma_f32 v[66:67], v[32:33], s[52:53], v[72:73] neg_lo:[0,0,1] neg_hi:[0,0,1]
	v_mov_b32_e32 v163, v173
	v_mov_b32_e32 v167, v65
	v_pk_add_f32 v[64:65], v[26:27], v[140:141]
	v_mov_b32_e32 v171, v67
	v_pk_fma_f32 v[66:67], v[30:31], s[22:23], v[82:83] neg_lo:[0,0,1] neg_hi:[0,0,1]
	v_pk_add_f32 v[112:113], v[162:163], v[112:113]
	v_pk_fma_f32 v[162:163], v[28:29], s[30:31], v[108:109] neg_lo:[1,0,0] neg_hi:[1,0,0]
	v_pk_add_f32 v[64:65], v[166:167], v[64:65]
	v_mov_b32_e32 v173, v67
	v_pk_fma_f32 v[66:67], v[28:29], s[30:31], v[108:109] neg_lo:[0,0,1] neg_hi:[0,0,1]
	v_mov_b32_e32 v163, v175
	v_pk_add_f32 v[64:65], v[168:169], v[64:65]
	v_mov_b32_e32 v175, v67
	v_pk_fma_f32 v[66:67], v[34:35], s[14:15], v[146:147] neg_lo:[0,0,1] neg_hi:[0,0,1]
	v_pk_add_f32 v[64:65], v[170:171], v[64:65]
	v_mov_b32_e32 v153, v67
	v_pk_fma_f32 v[66:67], v[32:33], s[50:51], v[150:151] neg_lo:[0,0,1] neg_hi:[0,0,1]
	;; [unrolled: 3-line block ×3, first 2 shown]
	v_pk_add_f32 v[112:113], v[162:163], v[112:113]
	v_pk_add_f32 v[64:65], v[174:175], v[64:65]
	v_mov_b32_e32 v161, v67
	v_pk_fma_f32 v[66:67], v[28:29], s[22:23], v[158:159] neg_lo:[0,0,1] neg_hi:[0,0,1]
	ds_write2_b64 v106, v[112:113], v[64:65] offset0:6 offset1:7
	v_pk_fma_f32 v[64:65], v[38:39], s[24:25], v[136:137] neg_lo:[0,0,1] neg_hi:[0,0,1]
	v_mov_b32_e32 v165, v67
	v_pk_fma_f32 v[66:67], v[38:39], s[22:23], v[110:111] neg_lo:[0,0,1] neg_hi:[0,0,1]
	v_mov_b32_e32 v143, v65
	;; [unrolled: 2-line block ×4, first 2 shown]
	v_pk_add_f32 v[64:65], v[26:27], v[142:143]
	v_mov_b32_e32 v123, v67
	v_pk_add_f32 v[66:67], v[26:27], v[116:117]
	v_pk_fma_f32 v[68:69], v[34:35], s[34:35], v[120:121] neg_lo:[0,0,1] neg_hi:[0,0,1]
	v_pk_add_f32 v[64:65], v[148:149], v[64:65]
	v_pk_add_f32 v[66:67], v[122:123], v[66:67]
	v_mov_b32_e32 v127, v69
	v_pk_fma_f32 v[68:69], v[32:33], s[20:21], v[124:125] neg_lo:[0,0,1] neg_hi:[0,0,1]
	v_pk_add_f32 v[64:65], v[152:153], v[64:65]
	v_pk_add_f32 v[66:67], v[126:127], v[66:67]
	v_mov_b32_e32 v131, v69
	v_pk_fma_f32 v[68:69], v[30:31], s[50:51], v[128:129] neg_lo:[0,0,1] neg_hi:[0,0,1]
	v_pk_add_f32 v[64:65], v[156:157], v[64:65]
	v_pk_add_f32 v[66:67], v[130:131], v[66:67]
	v_mov_b32_e32 v135, v69
	v_pk_fma_f32 v[68:69], v[28:29], s[52:53], v[132:133] neg_lo:[0,0,1] neg_hi:[0,0,1]
	v_pk_add_f32 v[64:65], v[160:161], v[64:65]
	v_pk_add_f32 v[66:67], v[134:135], v[66:67]
	v_mov_b32_e32 v139, v69
	v_pk_add_f32 v[64:65], v[164:165], v[64:65]
	v_pk_add_f32 v[66:67], v[138:139], v[66:67]
	v_pk_fma_f32 v[0:1], v[38:39], s[6:7], v[0:1] neg_lo:[0,0,1] neg_hi:[0,0,1]
	ds_write2_b64 v106, v[64:65], v[66:67] offset0:8 offset1:9
	v_pk_fma_f32 v[64:65], v[38:39], s[20:21], v[74:75] neg_lo:[0,0,1] neg_hi:[0,0,1]
	v_pk_fma_f32 v[42:43], v[38:39], s[14:15], v[42:43] neg_lo:[0,0,1] neg_hi:[0,0,1]
	v_mov_b32_e32 v3, v1
	v_mov_b32_e32 v71, v65
	v_pk_fma_f32 v[64:65], v[36:37], s[26:27], v[78:79] neg_lo:[0,0,1] neg_hi:[0,0,1]
	v_mov_b32_e32 v41, v43
	v_pk_fma_f32 v[42:43], v[36:37], s[22:23], v[46:47] neg_lo:[0,0,1] neg_hi:[0,0,1]
	v_pk_add_f32 v[0:1], v[26:27], v[2:3]
	v_pk_fma_f32 v[2:3], v[36:37], s[14:15], v[4:5] neg_lo:[0,0,1] neg_hi:[0,0,1]
	v_mov_b32_e32 v77, v65
	v_pk_add_f32 v[64:65], v[26:27], v[70:71]
	v_pk_fma_f32 v[66:67], v[34:35], s[40:41], v[84:85] neg_lo:[0,0,1] neg_hi:[0,0,1]
	v_mov_b32_e32 v45, v43
	;; [unrolled: 3-line block ×3, first 2 shown]
	v_pk_fma_f32 v[2:3], v[34:35], s[20:21], v[8:9] neg_lo:[0,0,1] neg_hi:[0,0,1]
	v_pk_add_f32 v[64:65], v[76:77], v[64:65]
	v_mov_b32_e32 v81, v67
	v_pk_fma_f32 v[66:67], v[32:33], s[34:35], v[88:89] neg_lo:[0,0,1] neg_hi:[0,0,1]
	v_pk_add_f32 v[40:41], v[44:45], v[40:41]
	v_mov_b32_e32 v49, v43
	;; [unrolled: 3-line block ×10, first 2 shown]
	v_pk_add_f32 v[40:41], v[56:57], v[40:41]
	v_mov_b32_e32 v61, v43
	v_pk_add_f32 v[0:1], v[18:19], v[0:1]
	v_mov_b32_e32 v23, v3
	v_pk_add_f32 v[64:65], v[94:95], v[64:65]
	v_pk_add_f32 v[40:41], v[60:61], v[40:41]
	;; [unrolled: 1-line block ×3, first 2 shown]
	ds_write2_b64 v106, v[64:65], v[40:41] offset0:10 offset1:11
	ds_write_b64 v106, v[0:1] offset:96
.LBB0_15:
	s_or_b64 exec, exec, s[4:5]
	v_add_u32_sdwa v4, s18, v105 dst_sel:DWORD dst_unused:UNUSED_PAD src0_sel:DWORD src1_sel:WORD_0
	v_mul_u32_u24_e32 v0, 3, v104
	v_lshlrev_b32_e32 v5, 3, v0
	v_mul_lo_u32 v0, v4, v104
	v_mov_b32_e32 v6, 3
	v_add_u32_e32 v2, 13, v104
	v_lshlrev_b32_sdwa v1, v6, v0 dst_sel:DWORD dst_unused:UNUSED_PAD src0_sel:DWORD src1_sel:BYTE_0
	v_lshlrev_b32_sdwa v0, v6, v0 dst_sel:DWORD dst_unused:UNUSED_PAD src0_sel:DWORD src1_sel:BYTE_1
	v_mul_lo_u32 v2, v4, v2
	s_waitcnt lgkmcnt(0)
	s_barrier
	v_lshlrev_b32_sdwa v3, v6, v2 dst_sel:DWORD dst_unused:UNUSED_PAD src0_sel:DWORD src1_sel:BYTE_0
	v_lshlrev_b32_sdwa v2, v6, v2 dst_sel:DWORD dst_unused:UNUSED_PAD src0_sel:DWORD src1_sel:BYTE_1
	global_load_dwordx2 v[8:9], v1, s[12:13]
	global_load_dwordx2 v[10:11], v0, s[12:13] offset:2048
	global_load_dwordx2 v[12:13], v3, s[12:13]
	global_load_dwordx2 v[14:15], v2, s[12:13] offset:2048
	v_add_u32_e32 v0, 26, v104
	v_mul_lo_u32 v7, v4, v0
	global_load_dwordx2 v[16:17], v5, s[16:17] offset:16
	global_load_dwordx4 v[0:3], v5, s[16:17]
	v_lshlrev_b32_sdwa v28, v6, v7 dst_sel:DWORD dst_unused:UNUSED_PAD src0_sel:DWORD src1_sel:BYTE_0
	v_lshlrev_b32_sdwa v5, v6, v7 dst_sel:DWORD dst_unused:UNUSED_PAD src0_sel:DWORD src1_sel:BYTE_1
	v_add_u32_e32 v7, 39, v104
	v_mul_lo_u32 v4, v4, v7
	v_lshlrev_b32_sdwa v7, v6, v4 dst_sel:DWORD dst_unused:UNUSED_PAD src0_sel:DWORD src1_sel:BYTE_0
	v_lshlrev_b32_sdwa v4, v6, v4 dst_sel:DWORD dst_unused:UNUSED_PAD src0_sel:DWORD src1_sel:BYTE_1
	global_load_dwordx2 v[18:19], v28, s[12:13]
	global_load_dwordx2 v[20:21], v5, s[12:13] offset:2048
	global_load_dwordx2 v[22:23], v7, s[12:13]
	global_load_dwordx2 v[26:27], v4, s[12:13] offset:2048
	ds_read2_b64 v[4:7], v102 offset0:13 offset1:26
	ds_read_b64 v[28:29], v102 offset:312
	ds_read_b64 v[30:31], v103
	s_waitcnt lgkmcnt(0)
	s_barrier
	s_waitcnt vmcnt(8)
	v_mov_b32_e32 v38, v11
	v_pk_mul_f32 v[40:41], v[8:9], v[10:11] op_sel:[1,0] op_sel_hi:[0,1]
	s_waitcnt vmcnt(6)
	v_mul_f32_e32 v39, v13, v15
	v_mul_f32_e32 v15, v12, v15
	s_waitcnt vmcnt(5)
	v_pk_mul_f32 v[36:37], v[16:17], v[28:29] op_sel:[0,1]
	s_waitcnt vmcnt(4)
	v_pk_mul_f32 v[32:33], v[0:1], v[4:5] op_sel:[0,1]
	v_pk_mul_f32 v[34:35], v[2:3], v[6:7] op_sel:[0,1]
	v_pk_fma_f32 v[42:43], v[0:1], v[4:5], v[32:33] op_sel:[0,0,1] op_sel_hi:[1,1,0] neg_lo:[0,0,1] neg_hi:[0,0,1]
	v_pk_fma_f32 v[0:1], v[0:1], v[4:5], v[32:33] op_sel:[0,0,1] op_sel_hi:[1,0,0]
	v_pk_fma_f32 v[4:5], v[2:3], v[6:7], v[34:35] op_sel:[0,0,1] op_sel_hi:[1,1,0] neg_lo:[0,0,1] neg_hi:[0,0,1]
	v_pk_fma_f32 v[2:3], v[2:3], v[6:7], v[34:35] op_sel:[0,0,1] op_sel_hi:[1,0,0]
	;; [unrolled: 2-line block ×3, first 2 shown]
	v_mov_b32_e32 v43, v1
	v_mov_b32_e32 v5, v3
	v_mov_b32_e32 v7, v17
	v_pk_mul_f32 v[28:29], v[8:9], v[38:39] op_sel:[1,0] op_sel_hi:[0,1]
	v_mov_b32_e32 v0, v41
	v_pk_add_f32 v[4:5], v[30:31], v[4:5] neg_lo:[0,1] neg_hi:[0,1]
	v_pk_add_f32 v[6:7], v[42:43], v[6:7] neg_lo:[0,1] neg_hi:[0,1]
	s_waitcnt vmcnt(2)
	v_mul_f32_e32 v40, v19, v21
	v_pk_fma_f32 v[2:3], v[8:9], v[10:11], v[28:29] neg_lo:[0,0,1] neg_hi:[0,0,1]
	v_pk_fma_f32 v[0:1], v[8:9], v[10:11], v[0:1] op_sel:[1,0,0] op_sel_hi:[0,1,1]
	v_pk_fma_f32 v[8:9], v[30:31], 2.0, v[4:5] op_sel_hi:[1,0,1] neg_lo:[0,0,1] neg_hi:[0,0,1]
	v_pk_fma_f32 v[10:11], v[42:43], 2.0, v[6:7] op_sel_hi:[1,0,1] neg_lo:[0,0,1] neg_hi:[0,0,1]
	v_mul_f32_e32 v21, v18, v21
	v_fma_f32 v12, v12, v14, -v39
	v_fmac_f32_e32 v15, v13, v14
	v_fma_f32 v14, v18, v20, -v40
	v_sub_f32_e32 v17, v4, v7
	v_add_f32_e32 v18, v5, v6
	v_pk_add_f32 v[6:7], v[8:9], v[10:11] neg_lo:[0,1] neg_hi:[0,1]
	v_fmac_f32_e32 v21, v19, v20
	v_fma_f32 v10, v4, 2.0, -v17
	v_fma_f32 v19, v5, 2.0, -v18
	v_pk_fma_f32 v[8:9], v[8:9], 2.0, v[6:7] op_sel_hi:[1,0,1] neg_lo:[0,0,1] neg_hi:[0,0,1]
	s_waitcnt vmcnt(0)
	v_mul_f32_e32 v44, v23, v27
	v_mul_f32_e32 v27, v22, v27
	;; [unrolled: 1-line block ×6, first 2 shown]
	v_pk_mul_f32 v[0:1], v[8:9], v[0:1] op_sel_hi:[1,0]
	v_fmac_f32_e32 v27, v23, v26
	v_fma_f32 v10, v10, v12, -v20
	v_fmac_f32_e32 v11, v19, v12
	v_fma_f32 v12, v6, v14, -v15
	v_fmac_f32_e32 v13, v7, v14
	v_pk_fma_f32 v[6:7], v[8:9], v[2:3], v[0:1] op_sel:[0,0,1] op_sel_hi:[1,1,0] neg_lo:[0,0,1] neg_hi:[0,0,1]
	v_pk_fma_f32 v[0:1], v[8:9], v[2:3], v[0:1] op_sel:[0,0,1] op_sel_hi:[1,0,0]
	v_fma_f32 v16, v22, v26, -v44
	v_mul_f32_e32 v4, v18, v27
	v_mul_f32_e32 v5, v17, v27
	v_mov_b32_e32 v7, v1
	v_fma_f32 v4, v17, v16, -v4
	v_fmac_f32_e32 v5, v18, v16
	ds_write2_b64 v102, v[6:7], v[10:11] offset1:13
	ds_write2_b64 v102, v[12:13], v[4:5] offset0:26 offset1:39
	s_waitcnt lgkmcnt(0)
	s_barrier
	s_and_saveexec_b64 s[4:5], s[0:1]
	s_cbranch_execz .LBB0_17
; %bb.16:
	v_mad_u64_u32 v[4:5], s[0:1], s10, v99, 0
	v_mov_b32_e32 v0, v5
	v_mad_u64_u32 v[0:1], s[0:1], s11, v99, v[0:1]
	v_mad_u64_u32 v[6:7], s[0:1], s8, v100, 0
	v_mov_b32_e32 v5, v0
	v_mov_b32_e32 v0, v7
	v_mad_u64_u32 v[8:9], s[0:1], s9, v100, v[0:1]
	v_mul_u32_u24_e32 v0, 0x1a0, v99
	v_add3_u32 v10, 0, v0, v101
	ds_read2_b64 v[0:3], v10 offset1:13
	v_mov_b32_e32 v7, v8
	v_lshl_add_u64 v[8:9], s[2:3], 0, v[24:25]
	v_lshl_add_u64 v[4:5], v[4:5], 3, v[8:9]
	;; [unrolled: 1-line block ×3, first 2 shown]
	s_waitcnt lgkmcnt(0)
	global_store_dwordx2 v[6:7], v[0:1], off
	v_mad_u64_u32 v[0:1], s[0:1], s8, v98, 0
	v_mov_b32_e32 v6, v1
	v_mad_u64_u32 v[6:7], s[0:1], s9, v98, v[6:7]
	v_mov_b32_e32 v1, v6
	v_lshl_add_u64 v[0:1], v[0:1], 3, v[4:5]
	global_store_dwordx2 v[0:1], v[2:3], off
	v_mad_u64_u32 v[6:7], s[0:1], s8, v97, 0
	ds_read2_b64 v[0:3], v10 offset0:26 offset1:39
	v_mov_b32_e32 v8, v7
	v_mad_u64_u32 v[8:9], s[0:1], s9, v97, v[8:9]
	v_mov_b32_e32 v7, v8
	v_lshl_add_u64 v[6:7], v[6:7], 3, v[4:5]
	s_waitcnt lgkmcnt(0)
	global_store_dwordx2 v[6:7], v[0:1], off
	v_mad_u64_u32 v[0:1], s[0:1], s8, v96, 0
	v_mov_b32_e32 v6, v1
	v_mad_u64_u32 v[6:7], s[0:1], s9, v96, v[6:7]
	v_mov_b32_e32 v1, v6
	v_lshl_add_u64 v[0:1], v[0:1], 3, v[4:5]
	global_store_dwordx2 v[0:1], v[2:3], off
.LBB0_17:
	s_endpgm
	.section	.rodata,"a",@progbits
	.p2align	6, 0x0
	.amdhsa_kernel fft_rtc_fwd_len52_factors_13_4_wgs_208_tpt_13_sp_ip_CI_sbcc_twdbase8_2step
		.amdhsa_group_segment_fixed_size 0
		.amdhsa_private_segment_fixed_size 0
		.amdhsa_kernarg_size 96
		.amdhsa_user_sgpr_count 2
		.amdhsa_user_sgpr_dispatch_ptr 0
		.amdhsa_user_sgpr_queue_ptr 0
		.amdhsa_user_sgpr_kernarg_segment_ptr 1
		.amdhsa_user_sgpr_dispatch_id 0
		.amdhsa_user_sgpr_kernarg_preload_length 0
		.amdhsa_user_sgpr_kernarg_preload_offset 0
		.amdhsa_user_sgpr_private_segment_size 0
		.amdhsa_uses_dynamic_stack 0
		.amdhsa_enable_private_segment 0
		.amdhsa_system_sgpr_workgroup_id_x 1
		.amdhsa_system_sgpr_workgroup_id_y 0
		.amdhsa_system_sgpr_workgroup_id_z 0
		.amdhsa_system_sgpr_workgroup_info 0
		.amdhsa_system_vgpr_workitem_id 0
		.amdhsa_next_free_vgpr 176
		.amdhsa_next_free_sgpr 58
		.amdhsa_accum_offset 176
		.amdhsa_reserve_vcc 1
		.amdhsa_float_round_mode_32 0
		.amdhsa_float_round_mode_16_64 0
		.amdhsa_float_denorm_mode_32 3
		.amdhsa_float_denorm_mode_16_64 3
		.amdhsa_dx10_clamp 1
		.amdhsa_ieee_mode 1
		.amdhsa_fp16_overflow 0
		.amdhsa_tg_split 0
		.amdhsa_exception_fp_ieee_invalid_op 0
		.amdhsa_exception_fp_denorm_src 0
		.amdhsa_exception_fp_ieee_div_zero 0
		.amdhsa_exception_fp_ieee_overflow 0
		.amdhsa_exception_fp_ieee_underflow 0
		.amdhsa_exception_fp_ieee_inexact 0
		.amdhsa_exception_int_div_zero 0
	.end_amdhsa_kernel
	.text
.Lfunc_end0:
	.size	fft_rtc_fwd_len52_factors_13_4_wgs_208_tpt_13_sp_ip_CI_sbcc_twdbase8_2step, .Lfunc_end0-fft_rtc_fwd_len52_factors_13_4_wgs_208_tpt_13_sp_ip_CI_sbcc_twdbase8_2step
                                        ; -- End function
	.section	.AMDGPU.csdata,"",@progbits
; Kernel info:
; codeLenInByte = 5200
; NumSgprs: 64
; NumVgprs: 176
; NumAgprs: 0
; TotalNumVgprs: 176
; ScratchSize: 0
; MemoryBound: 0
; FloatMode: 240
; IeeeMode: 1
; LDSByteSize: 0 bytes/workgroup (compile time only)
; SGPRBlocks: 7
; VGPRBlocks: 21
; NumSGPRsForWavesPerEU: 64
; NumVGPRsForWavesPerEU: 176
; AccumOffset: 176
; Occupancy: 2
; WaveLimiterHint : 1
; COMPUTE_PGM_RSRC2:SCRATCH_EN: 0
; COMPUTE_PGM_RSRC2:USER_SGPR: 2
; COMPUTE_PGM_RSRC2:TRAP_HANDLER: 0
; COMPUTE_PGM_RSRC2:TGID_X_EN: 1
; COMPUTE_PGM_RSRC2:TGID_Y_EN: 0
; COMPUTE_PGM_RSRC2:TGID_Z_EN: 0
; COMPUTE_PGM_RSRC2:TIDIG_COMP_CNT: 0
; COMPUTE_PGM_RSRC3_GFX90A:ACCUM_OFFSET: 43
; COMPUTE_PGM_RSRC3_GFX90A:TG_SPLIT: 0
	.text
	.p2alignl 6, 3212836864
	.fill 256, 4, 3212836864
	.type	__hip_cuid_27a02cd3eff8636a,@object ; @__hip_cuid_27a02cd3eff8636a
	.section	.bss,"aw",@nobits
	.globl	__hip_cuid_27a02cd3eff8636a
__hip_cuid_27a02cd3eff8636a:
	.byte	0                               ; 0x0
	.size	__hip_cuid_27a02cd3eff8636a, 1

	.ident	"AMD clang version 19.0.0git (https://github.com/RadeonOpenCompute/llvm-project roc-6.4.0 25133 c7fe45cf4b819c5991fe208aaa96edf142730f1d)"
	.section	".note.GNU-stack","",@progbits
	.addrsig
	.addrsig_sym __hip_cuid_27a02cd3eff8636a
	.amdgpu_metadata
---
amdhsa.kernels:
  - .agpr_count:     0
    .args:
      - .actual_access:  read_only
        .address_space:  global
        .offset:         0
        .size:           8
        .value_kind:     global_buffer
      - .address_space:  global
        .offset:         8
        .size:           8
        .value_kind:     global_buffer
      - .offset:         16
        .size:           8
        .value_kind:     by_value
      - .actual_access:  read_only
        .address_space:  global
        .offset:         24
        .size:           8
        .value_kind:     global_buffer
      - .actual_access:  read_only
        .address_space:  global
        .offset:         32
        .size:           8
        .value_kind:     global_buffer
      - .offset:         40
        .size:           8
        .value_kind:     by_value
      - .actual_access:  read_only
        .address_space:  global
        .offset:         48
        .size:           8
        .value_kind:     global_buffer
      - .actual_access:  read_only
        .address_space:  global
        .offset:         56
        .size:           8
        .value_kind:     global_buffer
      - .offset:         64
        .size:           4
        .value_kind:     by_value
      - .actual_access:  read_only
        .address_space:  global
        .offset:         72
        .size:           8
        .value_kind:     global_buffer
      - .actual_access:  read_only
        .address_space:  global
        .offset:         80
        .size:           8
        .value_kind:     global_buffer
      - .address_space:  global
        .offset:         88
        .size:           8
        .value_kind:     global_buffer
    .group_segment_fixed_size: 0
    .kernarg_segment_align: 8
    .kernarg_segment_size: 96
    .language:       OpenCL C
    .language_version:
      - 2
      - 0
    .max_flat_workgroup_size: 208
    .name:           fft_rtc_fwd_len52_factors_13_4_wgs_208_tpt_13_sp_ip_CI_sbcc_twdbase8_2step
    .private_segment_fixed_size: 0
    .sgpr_count:     64
    .sgpr_spill_count: 0
    .symbol:         fft_rtc_fwd_len52_factors_13_4_wgs_208_tpt_13_sp_ip_CI_sbcc_twdbase8_2step.kd
    .uniform_work_group_size: 1
    .uses_dynamic_stack: false
    .vgpr_count:     176
    .vgpr_spill_count: 0
    .wavefront_size: 64
amdhsa.target:   amdgcn-amd-amdhsa--gfx950
amdhsa.version:
  - 1
  - 2
...

	.end_amdgpu_metadata
